;; amdgpu-corpus repo=ROCm/rocFFT kind=compiled arch=gfx1100 opt=O3
	.text
	.amdgcn_target "amdgcn-amd-amdhsa--gfx1100"
	.amdhsa_code_object_version 6
	.protected	fft_rtc_back_len1232_factors_2_2_2_2_11_7_wgs_176_tpt_176_halfLds_dp_op_CI_CI_unitstride_sbrr_R2C_dirReg ; -- Begin function fft_rtc_back_len1232_factors_2_2_2_2_11_7_wgs_176_tpt_176_halfLds_dp_op_CI_CI_unitstride_sbrr_R2C_dirReg
	.globl	fft_rtc_back_len1232_factors_2_2_2_2_11_7_wgs_176_tpt_176_halfLds_dp_op_CI_CI_unitstride_sbrr_R2C_dirReg
	.p2align	8
	.type	fft_rtc_back_len1232_factors_2_2_2_2_11_7_wgs_176_tpt_176_halfLds_dp_op_CI_CI_unitstride_sbrr_R2C_dirReg,@function
fft_rtc_back_len1232_factors_2_2_2_2_11_7_wgs_176_tpt_176_halfLds_dp_op_CI_CI_unitstride_sbrr_R2C_dirReg: ; @fft_rtc_back_len1232_factors_2_2_2_2_11_7_wgs_176_tpt_176_halfLds_dp_op_CI_CI_unitstride_sbrr_R2C_dirReg
; %bb.0:
	s_clause 0x2
	s_load_b128 s[8:11], s[0:1], 0x0
	s_load_b128 s[4:7], s[0:1], 0x58
	;; [unrolled: 1-line block ×3, first 2 shown]
	v_mul_u32_u24_e32 v1, 0x175, v0
	v_mov_b32_e32 v3, 0
	s_delay_alu instid0(VALU_DEP_2) | instskip(NEXT) | instid1(VALU_DEP_1)
	v_lshrrev_b32_e32 v1, 16, v1
	v_add_nc_u32_e32 v5, s15, v1
	v_mov_b32_e32 v1, 0
	v_mov_b32_e32 v2, 0
	;; [unrolled: 1-line block ×3, first 2 shown]
	s_waitcnt lgkmcnt(0)
	v_cmp_lt_u64_e64 s2, s[10:11], 2
	s_delay_alu instid0(VALU_DEP_1)
	s_and_b32 vcc_lo, exec_lo, s2
	s_cbranch_vccnz .LBB0_8
; %bb.1:
	s_load_b64 s[2:3], s[0:1], 0x10
	v_mov_b32_e32 v1, 0
	v_mov_b32_e32 v2, 0
	s_add_u32 s12, s18, 8
	s_addc_u32 s13, s19, 0
	s_add_u32 s14, s16, 8
	s_addc_u32 s15, s17, 0
	v_dual_mov_b32 v53, v2 :: v_dual_mov_b32 v52, v1
	s_mov_b64 s[22:23], 1
	s_waitcnt lgkmcnt(0)
	s_add_u32 s20, s2, 8
	s_addc_u32 s21, s3, 0
.LBB0_2:                                ; =>This Inner Loop Header: Depth=1
	s_load_b64 s[24:25], s[20:21], 0x0
                                        ; implicit-def: $vgpr54_vgpr55
	s_mov_b32 s2, exec_lo
	s_waitcnt lgkmcnt(0)
	v_or_b32_e32 v4, s25, v6
	s_delay_alu instid0(VALU_DEP_1)
	v_cmpx_ne_u64_e32 0, v[3:4]
	s_xor_b32 s3, exec_lo, s2
	s_cbranch_execz .LBB0_4
; %bb.3:                                ;   in Loop: Header=BB0_2 Depth=1
	v_cvt_f32_u32_e32 v4, s24
	v_cvt_f32_u32_e32 v7, s25
	s_sub_u32 s2, 0, s24
	s_subb_u32 s26, 0, s25
	s_delay_alu instid0(VALU_DEP_1) | instskip(NEXT) | instid1(VALU_DEP_1)
	v_fmac_f32_e32 v4, 0x4f800000, v7
	v_rcp_f32_e32 v4, v4
	s_waitcnt_depctr 0xfff
	v_mul_f32_e32 v4, 0x5f7ffffc, v4
	s_delay_alu instid0(VALU_DEP_1) | instskip(NEXT) | instid1(VALU_DEP_1)
	v_mul_f32_e32 v7, 0x2f800000, v4
	v_trunc_f32_e32 v7, v7
	s_delay_alu instid0(VALU_DEP_1) | instskip(SKIP_1) | instid1(VALU_DEP_2)
	v_fmac_f32_e32 v4, 0xcf800000, v7
	v_cvt_u32_f32_e32 v7, v7
	v_cvt_u32_f32_e32 v4, v4
	s_delay_alu instid0(VALU_DEP_2) | instskip(NEXT) | instid1(VALU_DEP_2)
	v_mul_lo_u32 v8, s2, v7
	v_mul_hi_u32 v9, s2, v4
	v_mul_lo_u32 v10, s26, v4
	s_delay_alu instid0(VALU_DEP_2) | instskip(SKIP_1) | instid1(VALU_DEP_2)
	v_add_nc_u32_e32 v8, v9, v8
	v_mul_lo_u32 v9, s2, v4
	v_add_nc_u32_e32 v8, v8, v10
	s_delay_alu instid0(VALU_DEP_2) | instskip(NEXT) | instid1(VALU_DEP_2)
	v_mul_hi_u32 v10, v4, v9
	v_mul_lo_u32 v11, v4, v8
	v_mul_hi_u32 v12, v4, v8
	v_mul_hi_u32 v13, v7, v9
	v_mul_lo_u32 v9, v7, v9
	v_mul_hi_u32 v14, v7, v8
	v_mul_lo_u32 v8, v7, v8
	v_add_co_u32 v10, vcc_lo, v10, v11
	v_add_co_ci_u32_e32 v11, vcc_lo, 0, v12, vcc_lo
	s_delay_alu instid0(VALU_DEP_2) | instskip(NEXT) | instid1(VALU_DEP_2)
	v_add_co_u32 v9, vcc_lo, v10, v9
	v_add_co_ci_u32_e32 v9, vcc_lo, v11, v13, vcc_lo
	v_add_co_ci_u32_e32 v10, vcc_lo, 0, v14, vcc_lo
	s_delay_alu instid0(VALU_DEP_2) | instskip(NEXT) | instid1(VALU_DEP_2)
	v_add_co_u32 v8, vcc_lo, v9, v8
	v_add_co_ci_u32_e32 v9, vcc_lo, 0, v10, vcc_lo
	s_delay_alu instid0(VALU_DEP_2) | instskip(NEXT) | instid1(VALU_DEP_2)
	v_add_co_u32 v4, vcc_lo, v4, v8
	v_add_co_ci_u32_e32 v7, vcc_lo, v7, v9, vcc_lo
	s_delay_alu instid0(VALU_DEP_2) | instskip(SKIP_1) | instid1(VALU_DEP_3)
	v_mul_hi_u32 v8, s2, v4
	v_mul_lo_u32 v10, s26, v4
	v_mul_lo_u32 v9, s2, v7
	s_delay_alu instid0(VALU_DEP_1) | instskip(SKIP_1) | instid1(VALU_DEP_2)
	v_add_nc_u32_e32 v8, v8, v9
	v_mul_lo_u32 v9, s2, v4
	v_add_nc_u32_e32 v8, v8, v10
	s_delay_alu instid0(VALU_DEP_2) | instskip(NEXT) | instid1(VALU_DEP_2)
	v_mul_hi_u32 v10, v4, v9
	v_mul_lo_u32 v11, v4, v8
	v_mul_hi_u32 v12, v4, v8
	v_mul_hi_u32 v13, v7, v9
	v_mul_lo_u32 v9, v7, v9
	v_mul_hi_u32 v14, v7, v8
	v_mul_lo_u32 v8, v7, v8
	v_add_co_u32 v10, vcc_lo, v10, v11
	v_add_co_ci_u32_e32 v11, vcc_lo, 0, v12, vcc_lo
	s_delay_alu instid0(VALU_DEP_2) | instskip(NEXT) | instid1(VALU_DEP_2)
	v_add_co_u32 v9, vcc_lo, v10, v9
	v_add_co_ci_u32_e32 v9, vcc_lo, v11, v13, vcc_lo
	v_add_co_ci_u32_e32 v10, vcc_lo, 0, v14, vcc_lo
	s_delay_alu instid0(VALU_DEP_2) | instskip(NEXT) | instid1(VALU_DEP_2)
	v_add_co_u32 v8, vcc_lo, v9, v8
	v_add_co_ci_u32_e32 v9, vcc_lo, 0, v10, vcc_lo
	s_delay_alu instid0(VALU_DEP_2) | instskip(NEXT) | instid1(VALU_DEP_2)
	v_add_co_u32 v4, vcc_lo, v4, v8
	v_add_co_ci_u32_e32 v13, vcc_lo, v7, v9, vcc_lo
	s_delay_alu instid0(VALU_DEP_2) | instskip(SKIP_1) | instid1(VALU_DEP_3)
	v_mul_hi_u32 v14, v5, v4
	v_mad_u64_u32 v[9:10], null, v6, v4, 0
	v_mad_u64_u32 v[7:8], null, v5, v13, 0
	;; [unrolled: 1-line block ×3, first 2 shown]
	s_delay_alu instid0(VALU_DEP_2) | instskip(NEXT) | instid1(VALU_DEP_3)
	v_add_co_u32 v4, vcc_lo, v14, v7
	v_add_co_ci_u32_e32 v7, vcc_lo, 0, v8, vcc_lo
	s_delay_alu instid0(VALU_DEP_2) | instskip(NEXT) | instid1(VALU_DEP_2)
	v_add_co_u32 v4, vcc_lo, v4, v9
	v_add_co_ci_u32_e32 v4, vcc_lo, v7, v10, vcc_lo
	v_add_co_ci_u32_e32 v7, vcc_lo, 0, v12, vcc_lo
	s_delay_alu instid0(VALU_DEP_2) | instskip(NEXT) | instid1(VALU_DEP_2)
	v_add_co_u32 v4, vcc_lo, v4, v11
	v_add_co_ci_u32_e32 v9, vcc_lo, 0, v7, vcc_lo
	s_delay_alu instid0(VALU_DEP_2) | instskip(SKIP_1) | instid1(VALU_DEP_3)
	v_mul_lo_u32 v10, s25, v4
	v_mad_u64_u32 v[7:8], null, s24, v4, 0
	v_mul_lo_u32 v11, s24, v9
	s_delay_alu instid0(VALU_DEP_2) | instskip(NEXT) | instid1(VALU_DEP_2)
	v_sub_co_u32 v7, vcc_lo, v5, v7
	v_add3_u32 v8, v8, v11, v10
	s_delay_alu instid0(VALU_DEP_1) | instskip(NEXT) | instid1(VALU_DEP_1)
	v_sub_nc_u32_e32 v10, v6, v8
	v_subrev_co_ci_u32_e64 v10, s2, s25, v10, vcc_lo
	v_add_co_u32 v11, s2, v4, 2
	s_delay_alu instid0(VALU_DEP_1) | instskip(SKIP_3) | instid1(VALU_DEP_3)
	v_add_co_ci_u32_e64 v12, s2, 0, v9, s2
	v_sub_co_u32 v13, s2, v7, s24
	v_sub_co_ci_u32_e32 v8, vcc_lo, v6, v8, vcc_lo
	v_subrev_co_ci_u32_e64 v10, s2, 0, v10, s2
	v_cmp_le_u32_e32 vcc_lo, s24, v13
	s_delay_alu instid0(VALU_DEP_3) | instskip(SKIP_1) | instid1(VALU_DEP_4)
	v_cmp_eq_u32_e64 s2, s25, v8
	v_cndmask_b32_e64 v13, 0, -1, vcc_lo
	v_cmp_le_u32_e32 vcc_lo, s25, v10
	v_cndmask_b32_e64 v14, 0, -1, vcc_lo
	v_cmp_le_u32_e32 vcc_lo, s24, v7
	;; [unrolled: 2-line block ×3, first 2 shown]
	v_cndmask_b32_e64 v15, 0, -1, vcc_lo
	v_cmp_eq_u32_e32 vcc_lo, s25, v10
	s_delay_alu instid0(VALU_DEP_2) | instskip(SKIP_3) | instid1(VALU_DEP_3)
	v_cndmask_b32_e64 v7, v15, v7, s2
	v_cndmask_b32_e32 v10, v14, v13, vcc_lo
	v_add_co_u32 v13, vcc_lo, v4, 1
	v_add_co_ci_u32_e32 v14, vcc_lo, 0, v9, vcc_lo
	v_cmp_ne_u32_e32 vcc_lo, 0, v10
	s_delay_alu instid0(VALU_DEP_2) | instskip(NEXT) | instid1(VALU_DEP_4)
	v_cndmask_b32_e32 v8, v14, v12, vcc_lo
	v_cndmask_b32_e32 v10, v13, v11, vcc_lo
	v_cmp_ne_u32_e32 vcc_lo, 0, v7
	s_delay_alu instid0(VALU_DEP_2)
	v_dual_cndmask_b32 v55, v9, v8 :: v_dual_cndmask_b32 v54, v4, v10
.LBB0_4:                                ;   in Loop: Header=BB0_2 Depth=1
	s_and_not1_saveexec_b32 s2, s3
	s_cbranch_execz .LBB0_6
; %bb.5:                                ;   in Loop: Header=BB0_2 Depth=1
	v_cvt_f32_u32_e32 v4, s24
	s_sub_i32 s3, 0, s24
	v_mov_b32_e32 v55, v3
	s_delay_alu instid0(VALU_DEP_2) | instskip(SKIP_2) | instid1(VALU_DEP_1)
	v_rcp_iflag_f32_e32 v4, v4
	s_waitcnt_depctr 0xfff
	v_mul_f32_e32 v4, 0x4f7ffffe, v4
	v_cvt_u32_f32_e32 v4, v4
	s_delay_alu instid0(VALU_DEP_1) | instskip(NEXT) | instid1(VALU_DEP_1)
	v_mul_lo_u32 v7, s3, v4
	v_mul_hi_u32 v7, v4, v7
	s_delay_alu instid0(VALU_DEP_1) | instskip(NEXT) | instid1(VALU_DEP_1)
	v_add_nc_u32_e32 v4, v4, v7
	v_mul_hi_u32 v4, v5, v4
	s_delay_alu instid0(VALU_DEP_1) | instskip(SKIP_1) | instid1(VALU_DEP_2)
	v_mul_lo_u32 v7, v4, s24
	v_add_nc_u32_e32 v8, 1, v4
	v_sub_nc_u32_e32 v7, v5, v7
	s_delay_alu instid0(VALU_DEP_1) | instskip(SKIP_1) | instid1(VALU_DEP_2)
	v_subrev_nc_u32_e32 v9, s24, v7
	v_cmp_le_u32_e32 vcc_lo, s24, v7
	v_dual_cndmask_b32 v7, v7, v9 :: v_dual_cndmask_b32 v4, v4, v8
	s_delay_alu instid0(VALU_DEP_1) | instskip(NEXT) | instid1(VALU_DEP_2)
	v_cmp_le_u32_e32 vcc_lo, s24, v7
	v_add_nc_u32_e32 v8, 1, v4
	s_delay_alu instid0(VALU_DEP_1)
	v_cndmask_b32_e32 v54, v4, v8, vcc_lo
.LBB0_6:                                ;   in Loop: Header=BB0_2 Depth=1
	s_or_b32 exec_lo, exec_lo, s2
	s_delay_alu instid0(VALU_DEP_1) | instskip(NEXT) | instid1(VALU_DEP_2)
	v_mul_lo_u32 v4, v55, s24
	v_mul_lo_u32 v9, v54, s25
	s_load_b64 s[2:3], s[14:15], 0x0
	v_mad_u64_u32 v[7:8], null, v54, s24, 0
	s_load_b64 s[24:25], s[12:13], 0x0
	s_add_u32 s22, s22, 1
	s_addc_u32 s23, s23, 0
	s_add_u32 s12, s12, 8
	s_addc_u32 s13, s13, 0
	s_add_u32 s14, s14, 8
	s_delay_alu instid0(VALU_DEP_1) | instskip(SKIP_3) | instid1(VALU_DEP_2)
	v_add3_u32 v4, v8, v9, v4
	v_sub_co_u32 v8, vcc_lo, v5, v7
	s_addc_u32 s15, s15, 0
	s_add_u32 s20, s20, 8
	v_sub_co_ci_u32_e32 v6, vcc_lo, v6, v4, vcc_lo
	s_addc_u32 s21, s21, 0
	s_waitcnt lgkmcnt(0)
	s_delay_alu instid0(VALU_DEP_1)
	v_mul_lo_u32 v9, s2, v6
	v_mul_lo_u32 v10, s3, v8
	v_mad_u64_u32 v[4:5], null, s2, v8, v[1:2]
	v_mul_lo_u32 v11, s24, v6
	v_mul_lo_u32 v12, s25, v8
	v_mad_u64_u32 v[6:7], null, s24, v8, v[52:53]
	v_cmp_ge_u64_e64 s2, s[22:23], s[10:11]
	v_add3_u32 v2, v10, v5, v9
	s_delay_alu instid0(VALU_DEP_3) | instskip(NEXT) | instid1(VALU_DEP_4)
	v_dual_mov_b32 v1, v4 :: v_dual_mov_b32 v52, v6
	v_add3_u32 v53, v12, v7, v11
	s_delay_alu instid0(VALU_DEP_4)
	s_and_b32 vcc_lo, exec_lo, s2
	s_cbranch_vccnz .LBB0_9
; %bb.7:                                ;   in Loop: Header=BB0_2 Depth=1
	v_dual_mov_b32 v5, v54 :: v_dual_mov_b32 v6, v55
	s_branch .LBB0_2
.LBB0_8:
	v_dual_mov_b32 v53, v2 :: v_dual_mov_b32 v52, v1
	v_dual_mov_b32 v55, v6 :: v_dual_mov_b32 v54, v5
.LBB0_9:
	s_load_b64 s[0:1], s[0:1], 0x28
	v_mul_hi_u32 v3, 0x1745d18, v0
	s_lshl_b64 s[10:11], s[10:11], 3
                                        ; implicit-def: $vgpr56
                                        ; implicit-def: $vgpr59
                                        ; implicit-def: $vgpr61
                                        ; implicit-def: $vgpr58
	s_delay_alu instid0(SALU_CYCLE_1) | instskip(SKIP_4) | instid1(VALU_DEP_1)
	s_add_u32 s2, s18, s10
	s_addc_u32 s3, s19, s11
	s_waitcnt lgkmcnt(0)
	v_cmp_gt_u64_e32 vcc_lo, s[0:1], v[54:55]
	v_cmp_le_u64_e64 s0, s[0:1], v[54:55]
	s_and_saveexec_b32 s1, s0
	s_delay_alu instid0(SALU_CYCLE_1)
	s_xor_b32 s0, exec_lo, s1
; %bb.10:
	v_mul_u32_u24_e32 v1, 0xb0, v3
                                        ; implicit-def: $vgpr3
	s_delay_alu instid0(VALU_DEP_1) | instskip(NEXT) | instid1(VALU_DEP_1)
	v_sub_nc_u32_e32 v56, v0, v1
                                        ; implicit-def: $vgpr0
                                        ; implicit-def: $vgpr1_vgpr2
	v_add_nc_u32_e32 v59, 0xb0, v56
	v_add_nc_u32_e32 v61, 0x160, v56
	;; [unrolled: 1-line block ×3, first 2 shown]
; %bb.11:
	s_and_not1_saveexec_b32 s1, s0
	s_cbranch_execz .LBB0_13
; %bb.12:
	s_add_u32 s10, s16, s10
	s_addc_u32 s11, s17, s11
	v_lshlrev_b64 v[1:2], 4, v[1:2]
	s_load_b64 s[10:11], s[10:11], 0x0
	s_waitcnt lgkmcnt(0)
	v_mul_lo_u32 v6, s11, v54
	v_mul_lo_u32 v7, s10, v55
	v_mad_u64_u32 v[4:5], null, s10, v54, 0
	s_delay_alu instid0(VALU_DEP_1) | instskip(SKIP_1) | instid1(VALU_DEP_2)
	v_add3_u32 v5, v5, v7, v6
	v_mul_u32_u24_e32 v6, 0xb0, v3
	v_lshlrev_b64 v[3:4], 4, v[4:5]
	s_delay_alu instid0(VALU_DEP_2) | instskip(NEXT) | instid1(VALU_DEP_1)
	v_sub_nc_u32_e32 v56, v0, v6
	v_lshlrev_b32_e32 v28, 4, v56
	s_delay_alu instid0(VALU_DEP_3) | instskip(NEXT) | instid1(VALU_DEP_1)
	v_add_co_u32 v0, s0, s4, v3
	v_add_co_ci_u32_e64 v3, s0, s5, v4, s0
	v_add_nc_u32_e32 v59, 0xb0, v56
	s_delay_alu instid0(VALU_DEP_3) | instskip(NEXT) | instid1(VALU_DEP_1)
	v_add_co_u32 v0, s0, v0, v1
	v_add_co_ci_u32_e64 v1, s0, v3, v2, s0
	v_add_nc_u32_e32 v61, 0x160, v56
	s_delay_alu instid0(VALU_DEP_3) | instskip(NEXT) | instid1(VALU_DEP_1)
	v_add_co_u32 v8, s0, v0, v28
	v_add_co_ci_u32_e64 v9, s0, 0, v1, s0
	s_clause 0x1
	global_load_b128 v[0:3], v[8:9], off
	global_load_b128 v[4:7], v[8:9], off offset:2816
	v_add_co_u32 v10, s0, 0x1000, v8
	s_delay_alu instid0(VALU_DEP_1) | instskip(SKIP_1) | instid1(VALU_DEP_1)
	v_add_co_ci_u32_e64 v11, s0, 0, v9, s0
	v_add_co_u32 v16, s0, 0x2000, v8
	v_add_co_ci_u32_e64 v17, s0, 0, v9, s0
	v_add_co_u32 v20, s0, 0x3000, v8
	s_delay_alu instid0(VALU_DEP_1) | instskip(SKIP_1) | instid1(VALU_DEP_1)
	v_add_co_ci_u32_e64 v21, s0, 0, v9, s0
	v_add_co_u32 v24, s0, 0x4000, v8
	v_add_co_ci_u32_e64 v25, s0, 0, v9, s0
	s_clause 0x4
	global_load_b128 v[8:11], v[10:11], off offset:1536
	global_load_b128 v[12:15], v[16:17], off offset:256
	;; [unrolled: 1-line block ×5, first 2 shown]
	v_add_nc_u32_e32 v28, 0, v28
	v_add_nc_u32_e32 v58, 0x210, v56
	s_waitcnt vmcnt(6)
	ds_store_b128 v28, v[0:3]
	s_waitcnt vmcnt(5)
	ds_store_b128 v28, v[4:7] offset:2816
	s_waitcnt vmcnt(4)
	ds_store_b128 v28, v[8:11] offset:5632
	;; [unrolled: 2-line block ×6, first 2 shown]
.LBB0_13:
	s_or_b32 exec_lo, exec_lo, s1
	v_lshlrev_b32_e32 v57, 4, v56
	s_load_b64 s[2:3], s[2:3], 0x0
	s_waitcnt lgkmcnt(0)
	s_barrier
	buffer_gl0_inv
	v_add_nc_u32_e32 v68, 0, v57
	v_lshl_add_u32 v32, v59, 5, 0
	v_lshl_add_u32 v33, v61, 5, 0
	v_cmp_gt_u32_e64 s0, 0x58, v56
	ds_load_b128 v[0:3], v68 offset:9856
	ds_load_b128 v[8:11], v68
	ds_load_b128 v[12:15], v68 offset:2816
	ds_load_b128 v[4:7], v68 offset:12672
	;; [unrolled: 1-line block ×6, first 2 shown]
	s_waitcnt lgkmcnt(0)
	s_barrier
	buffer_gl0_inv
	v_add_f64 v[34:35], v[8:9], -v[0:1]
	v_add_f64 v[36:37], v[10:11], -v[2:3]
	;; [unrolled: 1-line block ×8, first 2 shown]
	v_fma_f64 v[8:9], v[8:9], 2.0, -v[34:35]
	v_fma_f64 v[10:11], v[10:11], 2.0, -v[36:37]
	;; [unrolled: 1-line block ×8, first 2 shown]
	v_add_nc_u32_e32 v24, v68, v57
	ds_store_b128 v24, v[8:11]
	ds_store_b128 v24, v[34:37] offset:16
	ds_store_b128 v32, v[12:15]
	ds_store_b128 v32, v[38:41] offset:16
	;; [unrolled: 2-line block ×3, first 2 shown]
	s_and_saveexec_b32 s1, s0
	s_cbranch_execz .LBB0_15
; %bb.14:
	v_lshl_add_u32 v8, v58, 5, 0
	ds_store_b128 v8, v[0:3]
	ds_store_b128 v8, v[4:7] offset:16
.LBB0_15:
	s_or_b32 exec_lo, exec_lo, s1
	v_lshlrev_b32_e32 v34, 4, v59
	v_lshlrev_b32_e32 v35, 4, v61
	s_waitcnt lgkmcnt(0)
	s_barrier
	buffer_gl0_inv
	v_sub_nc_u32_e32 v8, v32, v34
	v_sub_nc_u32_e32 v9, v33, v35
	v_lshlrev_b32_e32 v37, 1, v59
	ds_load_b128 v[12:15], v68
	ds_load_b128 v[20:23], v68 offset:9856
	ds_load_b128 v[16:19], v8
	ds_load_b128 v[8:11], v9
	ds_load_b128 v[28:31], v68 offset:12672
	ds_load_b128 v[24:27], v68 offset:15488
	v_lshlrev_b32_e32 v36, 1, v61
	v_lshl_add_u32 v69, v58, 4, 0
	s_and_saveexec_b32 s1, s0
	s_cbranch_execz .LBB0_17
; %bb.16:
	ds_load_b128 v[0:3], v69
	ds_load_b128 v[4:7], v68 offset:18304
.LBB0_17:
	s_or_b32 exec_lo, exec_lo, s1
	v_and_b32_e32 v40, 1, v56
	s_delay_alu instid0(VALU_DEP_1)
	v_lshlrev_b32_e32 v38, 4, v40
	global_load_b128 v[41:44], v38, s[8:9]
	s_waitcnt vmcnt(0) lgkmcnt(0)
	s_barrier
	buffer_gl0_inv
	v_mul_f64 v[38:39], v[22:23], v[43:44]
	v_mul_f64 v[45:46], v[20:21], v[43:44]
	;; [unrolled: 1-line block ×8, first 2 shown]
	v_fma_f64 v[20:21], v[20:21], v[41:42], v[38:39]
	v_fma_f64 v[22:23], v[22:23], v[41:42], -v[45:46]
	v_fma_f64 v[28:29], v[28:29], v[41:42], v[47:48]
	v_fma_f64 v[30:31], v[30:31], v[41:42], -v[49:50]
	;; [unrolled: 2-line block ×4, first 2 shown]
	v_add_f64 v[20:21], v[12:13], -v[20:21]
	v_add_f64 v[22:23], v[14:15], -v[22:23]
	;; [unrolled: 1-line block ×8, first 2 shown]
	v_lshlrev_b32_e32 v39, 1, v56
	v_lshlrev_b32_e32 v38, 1, v58
	v_fma_f64 v[12:13], v[12:13], 2.0, -v[20:21]
	v_fma_f64 v[14:15], v[14:15], 2.0, -v[22:23]
	;; [unrolled: 1-line block ×8, first 2 shown]
	v_and_or_b32 v10, 0x1fc, v39, v40
	v_and_or_b32 v11, 0x3fc, v37, v40
	v_sub_nc_u32_e32 v9, 0, v34
	v_and_or_b32 v34, 0x7fc, v36, v40
	v_sub_nc_u32_e32 v8, 0, v35
	v_lshl_add_u32 v10, v10, 4, 0
	v_lshl_add_u32 v11, v11, 4, 0
	s_delay_alu instid0(VALU_DEP_4)
	v_lshl_add_u32 v34, v34, 4, 0
	ds_store_b128 v10, v[12:15]
	ds_store_b128 v10, v[20:23] offset:32
	ds_store_b128 v11, v[16:19]
	ds_store_b128 v11, v[24:27] offset:32
	;; [unrolled: 2-line block ×3, first 2 shown]
	s_and_saveexec_b32 s1, s0
	s_cbranch_execz .LBB0_19
; %bb.18:
	v_and_or_b32 v10, 0x5fc, v38, v40
	s_delay_alu instid0(VALU_DEP_1)
	v_lshl_add_u32 v10, v10, 4, 0
	ds_store_b128 v10, v[0:3]
	ds_store_b128 v10, v[4:7] offset:32
.LBB0_19:
	s_or_b32 exec_lo, exec_lo, s1
	v_add_nc_u32_e32 v71, v32, v9
	v_add_nc_u32_e32 v70, v33, v8
	s_waitcnt lgkmcnt(0)
	s_barrier
	buffer_gl0_inv
	ds_load_b128 v[12:15], v68
	ds_load_b128 v[20:23], v68 offset:9856
	ds_load_b128 v[16:19], v71
	ds_load_b128 v[8:11], v70
	ds_load_b128 v[28:31], v68 offset:12672
	ds_load_b128 v[24:27], v68 offset:15488
	s_and_saveexec_b32 s1, s0
	s_cbranch_execz .LBB0_21
; %bb.20:
	ds_load_b128 v[0:3], v69
	ds_load_b128 v[4:7], v68 offset:18304
.LBB0_21:
	s_or_b32 exec_lo, exec_lo, s1
	v_and_b32_e32 v32, 3, v56
	s_delay_alu instid0(VALU_DEP_1)
	v_lshlrev_b32_e32 v33, 4, v32
	global_load_b128 v[40:43], v33, s[8:9] offset:32
	s_waitcnt vmcnt(0) lgkmcnt(0)
	s_barrier
	buffer_gl0_inv
	v_mul_f64 v[33:34], v[22:23], v[42:43]
	v_mul_f64 v[44:45], v[20:21], v[42:43]
	;; [unrolled: 1-line block ×8, first 2 shown]
	v_fma_f64 v[20:21], v[20:21], v[40:41], v[33:34]
	v_fma_f64 v[22:23], v[22:23], v[40:41], -v[44:45]
	v_fma_f64 v[28:29], v[28:29], v[40:41], v[46:47]
	v_fma_f64 v[30:31], v[30:31], v[40:41], -v[48:49]
	;; [unrolled: 2-line block ×4, first 2 shown]
	v_add_f64 v[20:21], v[12:13], -v[20:21]
	v_add_f64 v[22:23], v[14:15], -v[22:23]
	;; [unrolled: 1-line block ×8, first 2 shown]
	v_fma_f64 v[12:13], v[12:13], 2.0, -v[20:21]
	v_fma_f64 v[14:15], v[14:15], 2.0, -v[22:23]
	;; [unrolled: 1-line block ×8, first 2 shown]
	v_and_or_b32 v0, 0x1f8, v39, v32
	v_and_or_b32 v1, 0x3f8, v37, v32
	;; [unrolled: 1-line block ×3, first 2 shown]
	s_delay_alu instid0(VALU_DEP_3) | instskip(NEXT) | instid1(VALU_DEP_3)
	v_lshl_add_u32 v0, v0, 4, 0
	v_lshl_add_u32 v1, v1, 4, 0
	s_delay_alu instid0(VALU_DEP_3)
	v_lshl_add_u32 v2, v2, 4, 0
	ds_store_b128 v0, v[12:15]
	ds_store_b128 v0, v[20:23] offset:64
	ds_store_b128 v1, v[16:19]
	ds_store_b128 v1, v[24:27] offset:64
	;; [unrolled: 2-line block ×3, first 2 shown]
	s_and_saveexec_b32 s1, s0
	s_cbranch_execz .LBB0_23
; %bb.22:
	v_and_or_b32 v0, 0x5f8, v38, v32
	s_delay_alu instid0(VALU_DEP_1)
	v_lshl_add_u32 v0, v0, 4, 0
	ds_store_b128 v0, v[8:11]
	ds_store_b128 v0, v[4:7] offset:64
.LBB0_23:
	s_or_b32 exec_lo, exec_lo, s1
	s_waitcnt lgkmcnt(0)
	s_barrier
	buffer_gl0_inv
	ds_load_b128 v[0:3], v68
	ds_load_b128 v[12:15], v68 offset:9856
	ds_load_b128 v[20:23], v71
	ds_load_b128 v[28:31], v70
	ds_load_b128 v[24:27], v68 offset:12672
	ds_load_b128 v[16:19], v68 offset:15488
	s_and_saveexec_b32 s1, s0
	s_cbranch_execz .LBB0_25
; %bb.24:
	ds_load_b128 v[8:11], v69
	ds_load_b128 v[4:7], v68 offset:18304
.LBB0_25:
	s_or_b32 exec_lo, exec_lo, s1
	v_and_b32_e32 v40, 7, v56
	s_delay_alu instid0(VALU_DEP_1)
	v_lshlrev_b32_e32 v32, 4, v40
	global_load_b128 v[32:35], v32, s[8:9] offset:96
	s_waitcnt vmcnt(0) lgkmcnt(0)
	s_barrier
	buffer_gl0_inv
	v_mul_f64 v[41:42], v[14:15], v[34:35]
	v_mul_f64 v[43:44], v[12:13], v[34:35]
	;; [unrolled: 1-line block ×8, first 2 shown]
	v_fma_f64 v[12:13], v[12:13], v[32:33], v[41:42]
	v_fma_f64 v[14:15], v[14:15], v[32:33], -v[43:44]
	v_fma_f64 v[41:42], v[24:25], v[32:33], v[45:46]
	v_fma_f64 v[43:44], v[26:27], v[32:33], -v[47:48]
	;; [unrolled: 2-line block ×4, first 2 shown]
	v_add_f64 v[24:25], v[0:1], -v[12:13]
	v_add_f64 v[26:27], v[2:3], -v[14:15]
	;; [unrolled: 1-line block ×8, first 2 shown]
	v_fma_f64 v[0:1], v[0:1], 2.0, -v[24:25]
	v_fma_f64 v[2:3], v[2:3], 2.0, -v[26:27]
	;; [unrolled: 1-line block ×8, first 2 shown]
	v_and_or_b32 v8, 0x1f0, v39, v40
	v_and_or_b32 v9, 0x3f0, v37, v40
	;; [unrolled: 1-line block ×3, first 2 shown]
	s_delay_alu instid0(VALU_DEP_3) | instskip(NEXT) | instid1(VALU_DEP_3)
	v_lshl_add_u32 v8, v8, 4, 0
	v_lshl_add_u32 v9, v9, 4, 0
	s_delay_alu instid0(VALU_DEP_3)
	v_lshl_add_u32 v10, v10, 4, 0
	ds_store_b128 v8, v[0:3]
	ds_store_b128 v8, v[24:27] offset:128
	ds_store_b128 v9, v[4:7]
	ds_store_b128 v9, v[12:15] offset:128
	;; [unrolled: 2-line block ×3, first 2 shown]
	s_and_saveexec_b32 s1, s0
	s_cbranch_execz .LBB0_27
; %bb.26:
	v_and_or_b32 v8, 0x5f0, v38, v40
	s_delay_alu instid0(VALU_DEP_1)
	v_lshl_add_u32 v8, v8, 4, 0
	ds_store_b128 v8, v[28:31]
	ds_store_b128 v8, v[32:35] offset:128
.LBB0_27:
	s_or_b32 exec_lo, exec_lo, s1
	v_cmp_gt_u32_e64 s1, 0x70, v56
	s_waitcnt lgkmcnt(0)
	s_barrier
	buffer_gl0_inv
                                        ; implicit-def: $vgpr50_vgpr51
                                        ; implicit-def: $vgpr10_vgpr11
                                        ; implicit-def: $vgpr46_vgpr47
	s_and_saveexec_b32 s4, s1
	s_cbranch_execz .LBB0_29
; %bb.28:
	ds_load_b128 v[0:3], v68
	ds_load_b128 v[24:27], v68 offset:1792
	ds_load_b128 v[4:7], v68 offset:3584
	ds_load_b128 v[12:15], v68 offset:5376
	ds_load_b128 v[20:23], v68 offset:7168
	ds_load_b128 v[16:19], v68 offset:8960
	ds_load_b128 v[28:31], v68 offset:10752
	ds_load_b128 v[32:35], v68 offset:12544
	ds_load_b128 v[44:47], v68 offset:14336
	ds_load_b128 v[8:11], v68 offset:16128
	ds_load_b128 v[48:51], v68 offset:17920
.LBB0_29:
	s_or_b32 exec_lo, exec_lo, s4
	s_waitcnt lgkmcnt(0)
	s_barrier
	buffer_gl0_inv
	s_and_saveexec_b32 s33, s1
	s_cbranch_execz .LBB0_31
; %bb.30:
	v_and_b32_e32 v60, 15, v56
	s_mov_b32 s26, 0xbb3a28a1
	s_mov_b32 s20, 0xfd768dbf
	;; [unrolled: 1-line block ×4, first 2 shown]
	v_mul_u32_u24_e32 v36, 10, v60
	s_mov_b32 s22, 0x43842ef
	s_mov_b32 s19, 0x3fed1bb4
	;; [unrolled: 1-line block ×4, first 2 shown]
	v_lshlrev_b32_e32 v36, 4, v36
	s_mov_b32 s24, 0xf8bb580b
	s_mov_b32 s25, 0x3fe14ced
	;; [unrolled: 1-line block ×4, first 2 shown]
	s_clause 0x9
	global_load_b128 v[62:65], v36, s[8:9] offset:224
	global_load_b128 v[72:75], v36, s[8:9] offset:288
	;; [unrolled: 1-line block ×10, first 2 shown]
	s_mov_b32 s16, 0x7f775887
	s_mov_b32 s10, 0x9bcd5057
	;; [unrolled: 1-line block ×14, first 2 shown]
	s_waitcnt vmcnt(9)
	v_mul_f64 v[66:67], v[24:25], v[64:65]
	v_mul_f64 v[64:65], v[26:27], v[64:65]
	s_waitcnt vmcnt(8)
	v_mul_f64 v[100:101], v[18:19], v[74:75]
	v_mul_f64 v[74:75], v[16:17], v[74:75]
	s_waitcnt vmcnt(7)
	v_mul_f64 v[102:103], v[30:31], v[78:79]
	s_waitcnt vmcnt(6)
	v_mul_f64 v[104:105], v[22:23], v[82:83]
	v_mul_f64 v[82:83], v[20:21], v[82:83]
	s_waitcnt vmcnt(5)
	v_mul_f64 v[106:107], v[34:35], v[86:87]
	;; [unrolled: 3-line block ×3, first 2 shown]
	s_waitcnt vmcnt(2)
	v_mul_f64 v[112:113], v[46:47], v[98:99]
	v_mul_f64 v[94:95], v[12:13], v[94:95]
	;; [unrolled: 1-line block ×3, first 2 shown]
	s_waitcnt vmcnt(1)
	v_mul_f64 v[114:115], v[4:5], v[42:43]
	v_mul_f64 v[116:117], v[6:7], v[42:43]
	;; [unrolled: 1-line block ×5, first 2 shown]
	s_waitcnt vmcnt(0)
	v_mul_f64 v[118:119], v[10:11], v[38:39]
	v_mul_f64 v[120:121], v[8:9], v[38:39]
	v_fma_f64 v[66:67], v[26:27], v[62:63], -v[66:67]
	v_fma_f64 v[64:65], v[24:25], v[62:63], v[64:65]
	v_fma_f64 v[38:39], v[16:17], v[72:73], v[100:101]
	v_fma_f64 v[42:43], v[18:19], v[72:73], -v[74:75]
	v_fma_f64 v[24:25], v[28:29], v[76:77], v[102:103]
	v_fma_f64 v[28:29], v[20:21], v[80:81], v[104:105]
	v_fma_f64 v[62:63], v[22:23], v[80:81], -v[82:83]
	v_fma_f64 v[20:21], v[32:33], v[84:85], v[106:107]
	v_fma_f64 v[22:23], v[34:35], v[84:85], -v[86:87]
	;; [unrolled: 2-line block ×3, first 2 shown]
	v_fma_f64 v[14:15], v[46:47], v[96:97], -v[98:99]
	v_fma_f64 v[34:35], v[6:7], v[40:41], -v[114:115]
	v_fma_f64 v[40:41], v[4:5], v[40:41], v[116:117]
	v_fma_f64 v[16:17], v[48:49], v[88:89], v[108:109]
	v_fma_f64 v[26:27], v[30:31], v[76:77], -v[78:79]
	v_fma_f64 v[30:31], v[12:13], v[92:93], v[110:111]
	v_fma_f64 v[12:13], v[50:51], v[88:89], -v[90:91]
	;; [unrolled: 2-line block ×3, first 2 shown]
	v_add_f64 v[44:45], v[2:3], v[66:67]
	v_add_f64 v[46:47], v[0:1], v[64:65]
	v_add_f64 v[48:49], v[38:39], -v[24:25]
	v_add_f64 v[88:89], v[38:39], v[24:25]
	v_add_f64 v[8:9], v[28:29], -v[20:21]
	v_add_f64 v[36:37], v[62:63], -v[22:23]
	v_add_f64 v[92:93], v[28:29], v[20:21]
	v_add_f64 v[82:83], v[62:63], v[22:23]
	v_add_f64 v[74:75], v[32:33], -v[14:15]
	v_add_f64 v[86:87], v[32:33], v[14:15]
	v_add_f64 v[10:11], v[64:65], -v[16:17]
	v_add_f64 v[50:51], v[42:43], -v[26:27]
	;; [unrolled: 1-line block ×4, first 2 shown]
	v_add_f64 v[90:91], v[30:31], v[18:19]
	v_add_f64 v[66:67], v[66:67], v[12:13]
	v_add_f64 v[78:79], v[40:41], -v[4:5]
	v_add_f64 v[64:65], v[64:65], v[16:17]
	v_add_f64 v[84:85], v[34:35], -v[6:7]
	v_add_f64 v[80:81], v[42:43], v[26:27]
	v_add_f64 v[44:45], v[44:45], v[34:35]
	;; [unrolled: 1-line block ×5, first 2 shown]
	v_mul_f64 v[100:101], v[48:49], s[18:19]
	v_mul_f64 v[120:121], v[48:49], s[26:27]
	;; [unrolled: 1-line block ×17, first 2 shown]
	s_mov_b32 s19, 0xbfed1bb4
	v_mul_f64 v[108:109], v[10:11], s[22:23]
	v_mul_f64 v[118:119], v[76:77], s[22:23]
	;; [unrolled: 1-line block ×16, first 2 shown]
	v_add_f64 v[32:33], v[44:45], v[32:33]
	v_add_f64 v[30:31], v[46:47], v[30:31]
	v_mul_f64 v[44:45], v[76:77], s[28:29]
	v_mul_f64 v[76:77], v[76:77], s[18:19]
	;; [unrolled: 1-line block ×11, first 2 shown]
	v_fma_f64 v[200:201], v[90:91], s[16:17], -v[150:151]
	v_fma_f64 v[150:151], v[90:91], s[16:17], v[150:151]
	v_fma_f64 v[206:207], v[82:83], s[12:13], v[94:95]
	v_fma_f64 v[94:95], v[82:83], s[12:13], -v[94:95]
	v_fma_f64 v[208:209], v[82:83], s[10:11], v[124:125]
	v_fma_f64 v[174:175], v[64:65], s[10:11], -v[114:115]
	;; [unrolled: 2-line block ×3, first 2 shown]
	v_fma_f64 v[116:117], v[64:65], s[16:17], v[116:117]
	v_fma_f64 v[170:171], v[66:67], s[4:5], v[108:109]
	v_fma_f64 v[108:109], v[66:67], s[4:5], -v[108:109]
	v_fma_f64 v[178:179], v[64:65], s[4:5], -v[118:119]
	v_fma_f64 v[118:119], v[64:65], s[4:5], v[118:119]
	v_fma_f64 v[172:173], v[66:67], s[14:15], v[112:113]
	v_fma_f64 v[112:113], v[66:67], s[14:15], -v[112:113]
	v_fma_f64 v[196:197], v[66:67], s[12:13], -v[10:11]
	v_fma_f64 v[10:11], v[66:67], s[12:13], v[10:11]
	v_fma_f64 v[182:183], v[86:87], s[16:17], v[128:129]
	v_fma_f64 v[128:129], v[86:87], s[16:17], -v[128:129]
	v_fma_f64 v[184:185], v[86:87], s[14:15], v[130:131]
	v_fma_f64 v[130:131], v[86:87], s[14:15], -v[130:131]
	;; [unrolled: 2-line block ×4, first 2 shown]
	v_add_f64 v[32:33], v[32:33], v[62:63]
	v_add_f64 v[28:29], v[30:31], v[28:29]
	v_mul_f64 v[30:31], v[84:85], s[18:19]
	v_fma_f64 v[62:63], v[66:67], s[10:11], v[96:97]
	v_fma_f64 v[84:85], v[66:67], s[10:11], -v[96:97]
	v_fma_f64 v[96:97], v[66:67], s[16:17], v[102:103]
	v_fma_f64 v[102:103], v[66:67], s[16:17], -v[102:103]
	v_fma_f64 v[180:181], v[64:65], s[14:15], -v[44:45]
	v_fma_f64 v[44:45], v[64:65], s[14:15], v[44:45]
	v_fma_f64 v[198:199], v[64:65], s[12:13], v[76:77]
	v_fma_f64 v[64:65], v[64:65], s[12:13], -v[76:77]
	v_fma_f64 v[190:191], v[86:87], s[4:5], v[72:73]
	v_fma_f64 v[72:73], v[86:87], s[4:5], -v[72:73]
	v_fma_f64 v[86:87], v[34:35], s[14:15], v[134:135]
	v_fma_f64 v[134:135], v[34:35], s[14:15], -v[134:135]
	v_fma_f64 v[192:193], v[34:35], s[4:5], v[136:137]
	v_fma_f64 v[136:137], v[34:35], s[4:5], -v[136:137]
	v_fma_f64 v[194:195], v[34:35], s[10:11], v[138:139]
	v_fma_f64 v[66:67], v[34:35], s[16:17], -v[140:141]
	v_fma_f64 v[76:77], v[40:41], s[14:15], -v[142:143]
	v_fma_f64 v[202:203], v[40:41], s[16:17], v[148:149]
	v_fma_f64 v[148:149], v[40:41], s[16:17], -v[148:149]
	v_fma_f64 v[204:205], v[34:35], s[12:13], v[78:79]
	v_add_f64 v[114:115], v[0:1], v[114:115]
	v_add_f64 v[116:117], v[0:1], v[116:117]
	;; [unrolled: 1-line block ×7, first 2 shown]
	v_fma_f64 v[124:125], v[82:83], s[10:11], -v[124:125]
	v_mul_f64 v[46:47], v[48:49], s[22:23]
	v_mul_f64 v[48:49], v[48:49], s[20:21]
	;; [unrolled: 1-line block ×5, first 2 shown]
	v_add_f64 v[32:33], v[32:33], v[42:43]
	v_add_f64 v[28:29], v[28:29], v[38:39]
	v_fma_f64 v[38:39], v[34:35], s[10:11], -v[138:139]
	v_fma_f64 v[42:43], v[34:35], s[16:17], v[140:141]
	v_fma_f64 v[138:139], v[40:41], s[14:15], v[142:143]
	v_fma_f64 v[140:141], v[40:41], s[4:5], -v[144:145]
	v_fma_f64 v[142:143], v[40:41], s[4:5], v[144:145]
	v_fma_f64 v[144:145], v[40:41], s[10:11], -v[146:147]
	v_fma_f64 v[146:147], v[40:41], s[10:11], v[146:147]
	v_fma_f64 v[34:35], v[34:35], s[12:13], -v[78:79]
	v_fma_f64 v[78:79], v[40:41], s[12:13], v[30:31]
	v_fma_f64 v[30:31], v[40:41], s[12:13], -v[30:31]
	v_add_f64 v[40:41], v[2:3], v[62:63]
	v_add_f64 v[62:63], v[0:1], v[174:175]
	;; [unrolled: 1-line block ×13, first 2 shown]
	v_fma_f64 v[64:65], v[90:91], s[12:13], -v[110:111]
	v_fma_f64 v[110:111], v[90:91], s[12:13], v[110:111]
	v_fma_f64 v[180:181], v[90:91], s[4:5], -v[74:75]
	v_fma_f64 v[74:75], v[90:91], s[4:5], v[74:75]
	v_fma_f64 v[198:199], v[80:81], s[12:13], v[100:101]
	v_fma_f64 v[100:101], v[80:81], s[12:13], -v[100:101]
	v_add_f64 v[26:27], v[32:33], v[26:27]
	v_add_f64 v[24:25], v[28:29], v[24:25]
	v_fma_f64 v[32:33], v[90:91], s[14:15], v[152:153]
	v_fma_f64 v[28:29], v[90:91], s[14:15], -v[152:153]
	v_add_f64 v[38:39], v[38:39], v[108:109]
	v_fma_f64 v[152:153], v[90:91], s[10:11], -v[154:155]
	v_fma_f64 v[154:155], v[90:91], s[10:11], v[154:155]
	v_fma_f64 v[90:91], v[80:81], s[4:5], v[46:47]
	v_add_f64 v[108:109], v[146:147], v[118:119]
	v_add_f64 v[34:35], v[34:35], v[112:113]
	;; [unrolled: 1-line block ×3, first 2 shown]
	v_fma_f64 v[112:113], v[82:83], s[16:17], v[8:9]
	v_add_f64 v[40:41], v[86:87], v[40:41]
	v_add_f64 v[62:63], v[76:77], v[62:63]
	;; [unrolled: 1-line block ×16, first 2 shown]
	v_fma_f64 v[30:31], v[82:83], s[4:5], v[156:157]
	v_fma_f64 v[42:43], v[82:83], s[4:5], -v[156:157]
	v_fma_f64 v[8:9], v[82:83], s[16:17], -v[8:9]
	v_fma_f64 v[136:137], v[92:93], s[10:11], v[158:159]
	v_fma_f64 v[138:139], v[92:93], s[14:15], -v[160:161]
	v_fma_f64 v[140:141], v[92:93], s[14:15], v[160:161]
	;; [unrolled: 2-line block ×4, first 2 shown]
	v_add_f64 v[22:23], v[26:27], v[22:23]
	v_add_f64 v[20:21], v[24:25], v[20:21]
	v_fma_f64 v[24:25], v[82:83], s[14:15], v[126:127]
	v_fma_f64 v[26:27], v[82:83], s[14:15], -v[126:127]
	v_fma_f64 v[82:83], v[92:93], s[12:13], -v[98:99]
	v_fma_f64 v[98:99], v[92:93], s[12:13], v[98:99]
	v_fma_f64 v[126:127], v[92:93], s[10:11], -v[158:159]
	v_add_f64 v[38:39], v[106:107], v[38:39]
	v_fma_f64 v[46:47], v[80:81], s[4:5], -v[46:47]
	v_add_f64 v[34:35], v[72:73], v[34:35]
	v_add_f64 v[106:107], v[190:191], v[118:119]
	v_fma_f64 v[118:119], v[88:89], s[16:17], v[166:167]
	v_add_f64 v[40:41], v[182:183], v[40:41]
	v_add_f64 v[62:63], v[200:201], v[62:63]
	;; [unrolled: 1-line block ×17, first 2 shown]
	v_fma_f64 v[114:115], v[88:89], s[12:13], -v[104:105]
	v_fma_f64 v[104:105], v[88:89], s[12:13], v[104:105]
	v_fma_f64 v[74:75], v[80:81], s[16:17], -v[120:121]
	v_fma_f64 v[78:79], v[80:81], s[14:15], v[122:123]
	;; [unrolled: 2-line block ×4, first 2 shown]
	v_fma_f64 v[128:129], v[88:89], s[10:11], -v[50:51]
	v_add_f64 v[14:15], v[22:23], v[14:15]
	v_add_f64 v[18:19], v[20:21], v[18:19]
	v_fma_f64 v[20:21], v[88:89], s[4:5], -v[164:165]
	v_fma_f64 v[22:23], v[80:81], s[16:17], v[120:121]
	v_fma_f64 v[80:81], v[88:89], s[4:5], v[164:165]
	;; [unrolled: 1-line block ×3, first 2 shown]
	v_fma_f64 v[116:117], v[88:89], s[16:17], -v[166:167]
	v_add_f64 v[26:27], v[26:27], v[38:39]
	v_fma_f64 v[120:121], v[88:89], s[14:15], -v[168:169]
	v_add_f64 v[34:35], v[8:9], v[34:35]
	v_add_f64 v[88:89], v[112:113], v[106:107]
	;; [unrolled: 1-line block ×43, first 2 shown]
	v_lshrrev_b32_e32 v16, 4, v56
	s_delay_alu instid0(VALU_DEP_1) | instskip(NEXT) | instid1(VALU_DEP_1)
	v_mul_u32_u24_e32 v16, 0xb0, v16
	v_or_b32_e32 v16, v16, v60
	s_delay_alu instid0(VALU_DEP_1)
	v_lshl_add_u32 v16, v16, 4, 0
	ds_store_b128 v16, v[18:21] offset:1024
	ds_store_b128 v16, v[4:7] offset:1280
	;; [unrolled: 1-line block ×9, first 2 shown]
	ds_store_b128 v16, v[42:45]
	ds_store_b128 v16, v[12:15] offset:2560
.LBB0_31:
	s_or_b32 exec_lo, exec_lo, s33
	v_mul_u32_u24_e32 v0, 6, v56
	s_waitcnt lgkmcnt(0)
	s_barrier
	buffer_gl0_inv
	s_mov_b32 s4, 0x37e14327
	v_lshlrev_b32_e32 v20, 4, v0
	s_mov_b32 s5, 0x3fe948f6
	s_mov_b32 s10, 0x36b3c0b5
	;; [unrolled: 1-line block ×4, first 2 shown]
	s_clause 0x5
	global_load_b128 v[0:3], v20, s[8:9] offset:2784
	global_load_b128 v[4:7], v20, s[8:9] offset:2800
	;; [unrolled: 1-line block ×6, first 2 shown]
	ds_load_b128 v[24:27], v71
	ds_load_b128 v[28:31], v70
	ds_load_b128 v[32:35], v68 offset:16896
	ds_load_b128 v[36:39], v68 offset:14080
	ds_load_b128 v[40:43], v69
	ds_load_b128 v[44:47], v68 offset:11264
	s_mov_b32 s13, 0x3fe11646
	s_mov_b32 s15, 0x3fe77f67
	;; [unrolled: 1-line block ×5, first 2 shown]
	s_waitcnt vmcnt(5) lgkmcnt(5)
	v_mul_f64 v[48:49], v[26:27], v[2:3]
	v_mul_f64 v[2:3], v[24:25], v[2:3]
	s_waitcnt vmcnt(4) lgkmcnt(4)
	v_mul_f64 v[50:51], v[30:31], v[6:7]
	v_mul_f64 v[6:7], v[28:29], v[6:7]
	;; [unrolled: 3-line block ×6, first 2 shown]
	v_fma_f64 v[24:25], v[24:25], v[0:1], v[48:49]
	v_fma_f64 v[0:1], v[26:27], v[0:1], -v[2:3]
	v_fma_f64 v[2:3], v[28:29], v[4:5], v[50:51]
	v_fma_f64 v[4:5], v[30:31], v[4:5], -v[6:7]
	;; [unrolled: 2-line block ×6, first 2 shown]
	v_add_f64 v[22:23], v[24:25], v[6:7]
	v_add_f64 v[26:27], v[0:1], v[8:9]
	;; [unrolled: 1-line block ×4, first 2 shown]
	v_add_f64 v[10:11], v[2:3], -v[10:11]
	v_add_f64 v[4:5], v[4:5], -v[12:13]
	v_add_f64 v[32:33], v[14:15], v[18:19]
	v_add_f64 v[34:35], v[16:17], v[20:21]
	v_add_f64 v[12:13], v[18:19], -v[14:15]
	v_add_f64 v[14:15], v[20:21], -v[16:17]
	;; [unrolled: 1-line block ×4, first 2 shown]
	v_add_f64 v[0:1], v[28:29], v[22:23]
	v_add_f64 v[2:3], v[30:31], v[26:27]
	v_add_f64 v[16:17], v[22:23], -v[32:33]
	v_add_f64 v[18:19], v[26:27], -v[34:35]
	;; [unrolled: 1-line block ×10, first 2 shown]
	v_add_f64 v[10:11], v[12:13], v[10:11]
	v_add_f64 v[4:5], v[14:15], v[4:5]
	v_add_f64 v[12:13], v[6:7], -v[12:13]
	v_add_f64 v[14:15], v[8:9], -v[14:15]
	v_add_f64 v[32:33], v[32:33], v[0:1]
	v_add_f64 v[34:35], v[34:35], v[2:3]
	ds_load_b128 v[0:3], v68
	s_waitcnt lgkmcnt(0)
	v_mul_f64 v[16:17], v[16:17], s[4:5]
	v_mul_f64 v[18:19], v[18:19], s[4:5]
	s_mov_b32 s4, 0x429ad128
	v_mul_f64 v[28:29], v[20:21], s[10:11]
	v_mul_f64 v[30:31], v[24:25], s[10:11]
	;; [unrolled: 1-line block ×4, first 2 shown]
	s_mov_b32 s5, 0xbfebfeb5
	s_mov_b32 s12, 0xaaaaaaaa
	v_mul_f64 v[44:45], v[40:41], s[4:5]
	v_mul_f64 v[46:47], v[42:43], s[4:5]
	s_mov_b32 s13, 0xbff2aaaa
	v_add_f64 v[6:7], v[10:11], v[6:7]
	v_add_f64 v[4:5], v[4:5], v[8:9]
	s_barrier
	buffer_gl0_inv
	v_add_f64 v[0:1], v[0:1], v[32:33]
	v_add_f64 v[2:3], v[2:3], v[34:35]
	v_fma_f64 v[8:9], v[20:21], s[10:11], v[16:17]
	v_fma_f64 v[10:11], v[24:25], s[10:11], v[18:19]
	v_fma_f64 v[20:21], v[22:23], s[14:15], -v[28:29]
	v_fma_f64 v[24:25], v[26:27], s[14:15], -v[30:31]
	s_mov_b32 s15, 0xbfe77f67
	v_fma_f64 v[28:29], v[12:13], s[16:17], v[36:37]
	v_fma_f64 v[30:31], v[14:15], s[16:17], v[38:39]
	s_mov_b32 s17, 0x3fd5d0dc
	v_fma_f64 v[36:37], v[40:41], s[4:5], -v[36:37]
	v_fma_f64 v[38:39], v[42:43], s[4:5], -v[38:39]
	;; [unrolled: 1-line block ×6, first 2 shown]
	s_mov_b32 s4, 0x37c3f68c
	s_mov_b32 s5, 0xbfdc38aa
	v_fma_f64 v[32:33], v[32:33], s[12:13], v[0:1]
	v_fma_f64 v[34:35], v[34:35], s[12:13], v[2:3]
	;; [unrolled: 1-line block ×8, first 2 shown]
	s_add_u32 s4, s8, 0x4ce0
	s_addc_u32 s5, s9, 0
	s_mov_b32 s8, exec_lo
	v_add_f64 v[40:41], v[8:9], v[32:33]
	v_add_f64 v[42:43], v[10:11], v[34:35]
	;; [unrolled: 1-line block ×7, first 2 shown]
	v_add_f64 v[6:7], v[42:43], -v[26:27]
	v_add_f64 v[8:9], v[38:39], v[44:45]
	v_add_f64 v[10:11], v[46:47], -v[36:37]
	v_add_f64 v[12:13], v[16:17], -v[30:31]
	v_add_f64 v[14:15], v[22:23], v[18:19]
	v_add_f64 v[16:17], v[30:31], v[16:17]
	v_add_f64 v[18:19], v[18:19], -v[22:23]
	v_add_f64 v[20:21], v[44:45], -v[38:39]
	v_add_f64 v[22:23], v[36:37], v[46:47]
	v_add_f64 v[24:25], v[40:41], -v[28:29]
	v_add_f64 v[26:27], v[26:27], v[42:43]
	ds_store_b128 v68, v[0:3]
	ds_store_b128 v68, v[4:7] offset:2816
	ds_store_b128 v68, v[8:11] offset:5632
	;; [unrolled: 1-line block ×6, first 2 shown]
	s_waitcnt lgkmcnt(0)
	s_barrier
	buffer_gl0_inv
	ds_load_b128 v[0:3], v68
	v_sub_nc_u32_e32 v8, 0, v57
                                        ; implicit-def: $vgpr6_vgpr7
                                        ; implicit-def: $vgpr4_vgpr5
	v_cmpx_ne_u32_e32 0, v56
	s_xor_b32 s8, exec_lo, s8
	s_cbranch_execz .LBB0_33
; %bb.32:
	v_mov_b32_e32 v57, 0
	s_delay_alu instid0(VALU_DEP_1) | instskip(NEXT) | instid1(VALU_DEP_1)
	v_lshlrev_b64 v[4:5], 4, v[56:57]
	v_add_co_u32 v4, s1, s4, v4
	s_delay_alu instid0(VALU_DEP_1)
	v_add_co_ci_u32_e64 v5, s1, s5, v5, s1
	global_load_b128 v[9:12], v[4:5], off
	ds_load_b128 v[4:7], v8 offset:19712
	s_waitcnt lgkmcnt(0)
	v_add_f64 v[13:14], v[0:1], -v[4:5]
	v_add_f64 v[15:16], v[2:3], v[6:7]
	v_add_f64 v[2:3], v[2:3], -v[6:7]
	v_add_f64 v[0:1], v[0:1], v[4:5]
	s_delay_alu instid0(VALU_DEP_4) | instskip(NEXT) | instid1(VALU_DEP_4)
	v_mul_f64 v[6:7], v[13:14], 0.5
	v_mul_f64 v[13:14], v[15:16], 0.5
	s_delay_alu instid0(VALU_DEP_4) | instskip(SKIP_1) | instid1(VALU_DEP_3)
	v_mul_f64 v[2:3], v[2:3], 0.5
	s_waitcnt vmcnt(0)
	v_mul_f64 v[4:5], v[6:7], v[11:12]
	s_delay_alu instid0(VALU_DEP_2) | instskip(SKIP_1) | instid1(VALU_DEP_3)
	v_fma_f64 v[15:16], v[13:14], v[11:12], v[2:3]
	v_fma_f64 v[2:3], v[13:14], v[11:12], -v[2:3]
	v_fma_f64 v[11:12], v[0:1], 0.5, v[4:5]
	v_fma_f64 v[0:1], v[0:1], 0.5, -v[4:5]
	s_delay_alu instid0(VALU_DEP_4) | instskip(NEXT) | instid1(VALU_DEP_4)
	v_fma_f64 v[15:16], -v[9:10], v[6:7], v[15:16]
	v_fma_f64 v[2:3], -v[9:10], v[6:7], v[2:3]
	ds_store_b64 v68, v[15:16] offset:8
	ds_store_b64 v8, v[2:3] offset:19720
	v_fma_f64 v[4:5], v[13:14], v[9:10], v[11:12]
	v_fma_f64 v[6:7], -v[13:14], v[9:10], v[0:1]
                                        ; implicit-def: $vgpr0_vgpr1
.LBB0_33:
	s_and_not1_saveexec_b32 s1, s8
	s_cbranch_execz .LBB0_35
; %bb.34:
	s_waitcnt lgkmcnt(0)
	v_add_f64 v[4:5], v[0:1], v[2:3]
	v_add_f64 v[6:7], v[0:1], -v[2:3]
	s_mov_b32 s8, 0
	v_mov_b32_e32 v2, 0
	s_mov_b32 s9, s8
	s_delay_alu instid0(SALU_CYCLE_1)
	v_dual_mov_b32 v0, s8 :: v_dual_mov_b32 v1, s9
	ds_store_b64 v68, v[0:1] offset:8
	ds_store_b64 v8, v[0:1] offset:19720
	ds_load_b64 v[0:1], v2 offset:9864
	s_waitcnt lgkmcnt(0)
	v_xor_b32_e32 v1, 0x80000000, v1
	ds_store_b64 v2, v[0:1] offset:9864
.LBB0_35:
	s_or_b32 exec_lo, exec_lo, s1
	v_mov_b32_e32 v60, 0
	s_waitcnt lgkmcnt(0)
	s_delay_alu instid0(VALU_DEP_1) | instskip(SKIP_1) | instid1(VALU_DEP_1)
	v_lshlrev_b64 v[0:1], 4, v[59:60]
	v_mov_b32_e32 v62, v60
	v_lshlrev_b64 v[9:10], 4, v[61:62]
	s_delay_alu instid0(VALU_DEP_3) | instskip(NEXT) | instid1(VALU_DEP_1)
	v_add_co_u32 v0, s1, s4, v0
	v_add_co_ci_u32_e64 v1, s1, s5, v1, s1
	s_delay_alu instid0(VALU_DEP_3)
	v_add_co_u32 v9, s1, s4, v9
	global_load_b128 v[0:3], v[0:1], off
	v_add_co_ci_u32_e64 v10, s1, s5, v10, s1
	global_load_b128 v[9:12], v[9:10], off
	ds_store_b64 v68, v[4:5]
	ds_store_b64 v8, v[6:7] offset:19712
	ds_load_b128 v[4:7], v71
	ds_load_b128 v[13:16], v8 offset:16896
	s_waitcnt lgkmcnt(0)
	v_add_f64 v[17:18], v[4:5], -v[13:14]
	v_add_f64 v[19:20], v[6:7], v[15:16]
	v_add_f64 v[6:7], v[6:7], -v[15:16]
	v_add_f64 v[4:5], v[4:5], v[13:14]
	s_delay_alu instid0(VALU_DEP_4) | instskip(NEXT) | instid1(VALU_DEP_4)
	v_mul_f64 v[15:16], v[17:18], 0.5
	v_mul_f64 v[17:18], v[19:20], 0.5
	s_delay_alu instid0(VALU_DEP_4) | instskip(SKIP_1) | instid1(VALU_DEP_3)
	v_mul_f64 v[6:7], v[6:7], 0.5
	s_waitcnt vmcnt(1)
	v_mul_f64 v[13:14], v[15:16], v[2:3]
	s_delay_alu instid0(VALU_DEP_2) | instskip(SKIP_1) | instid1(VALU_DEP_3)
	v_fma_f64 v[19:20], v[17:18], v[2:3], v[6:7]
	v_fma_f64 v[2:3], v[17:18], v[2:3], -v[6:7]
	v_fma_f64 v[6:7], v[4:5], 0.5, v[13:14]
	v_fma_f64 v[13:14], v[4:5], 0.5, -v[13:14]
	s_delay_alu instid0(VALU_DEP_4) | instskip(NEXT) | instid1(VALU_DEP_4)
	v_fma_f64 v[4:5], -v[0:1], v[15:16], v[19:20]
	v_fma_f64 v[15:16], -v[0:1], v[15:16], v[2:3]
	s_delay_alu instid0(VALU_DEP_4) | instskip(NEXT) | instid1(VALU_DEP_4)
	v_fma_f64 v[2:3], v[17:18], v[0:1], v[6:7]
	v_fma_f64 v[13:14], -v[17:18], v[0:1], v[13:14]
	ds_store_b128 v71, v[2:5]
	ds_store_b128 v8, v[13:16] offset:16896
	ds_load_b128 v[0:3], v70
	ds_load_b128 v[4:7], v8 offset:14080
	s_waitcnt lgkmcnt(0)
	v_add_f64 v[13:14], v[0:1], -v[4:5]
	v_add_f64 v[15:16], v[2:3], v[6:7]
	v_add_f64 v[2:3], v[2:3], -v[6:7]
	v_add_f64 v[0:1], v[0:1], v[4:5]
	s_delay_alu instid0(VALU_DEP_4) | instskip(NEXT) | instid1(VALU_DEP_4)
	v_mul_f64 v[6:7], v[13:14], 0.5
	v_mul_f64 v[13:14], v[15:16], 0.5
	s_delay_alu instid0(VALU_DEP_4) | instskip(SKIP_1) | instid1(VALU_DEP_3)
	v_mul_f64 v[2:3], v[2:3], 0.5
	s_waitcnt vmcnt(0)
	v_mul_f64 v[4:5], v[6:7], v[11:12]
	s_delay_alu instid0(VALU_DEP_2) | instskip(SKIP_1) | instid1(VALU_DEP_3)
	v_fma_f64 v[15:16], v[13:14], v[11:12], v[2:3]
	v_fma_f64 v[11:12], v[13:14], v[11:12], -v[2:3]
	v_fma_f64 v[17:18], v[0:1], 0.5, v[4:5]
	v_fma_f64 v[4:5], v[0:1], 0.5, -v[4:5]
	s_delay_alu instid0(VALU_DEP_4) | instskip(NEXT) | instid1(VALU_DEP_4)
	v_fma_f64 v[2:3], -v[9:10], v[6:7], v[15:16]
	v_fma_f64 v[6:7], -v[9:10], v[6:7], v[11:12]
	s_delay_alu instid0(VALU_DEP_4) | instskip(NEXT) | instid1(VALU_DEP_4)
	v_fma_f64 v[0:1], v[13:14], v[9:10], v[17:18]
	v_fma_f64 v[4:5], -v[13:14], v[9:10], v[4:5]
	ds_store_b128 v70, v[0:3]
	ds_store_b128 v8, v[4:7] offset:14080
	s_and_saveexec_b32 s1, s0
	s_cbranch_execz .LBB0_37
; %bb.36:
	v_mov_b32_e32 v59, v60
	s_delay_alu instid0(VALU_DEP_1) | instskip(NEXT) | instid1(VALU_DEP_1)
	v_lshlrev_b64 v[0:1], 4, v[58:59]
	v_add_co_u32 v0, s0, s4, v0
	s_delay_alu instid0(VALU_DEP_1)
	v_add_co_ci_u32_e64 v1, s0, s5, v1, s0
	global_load_b128 v[0:3], v[0:1], off
	ds_load_b128 v[4:7], v69
	ds_load_b128 v[9:12], v8 offset:11264
	s_waitcnt lgkmcnt(0)
	v_add_f64 v[13:14], v[4:5], -v[9:10]
	v_add_f64 v[15:16], v[6:7], v[11:12]
	v_add_f64 v[6:7], v[6:7], -v[11:12]
	v_add_f64 v[4:5], v[4:5], v[9:10]
	s_delay_alu instid0(VALU_DEP_4) | instskip(NEXT) | instid1(VALU_DEP_4)
	v_mul_f64 v[11:12], v[13:14], 0.5
	v_mul_f64 v[13:14], v[15:16], 0.5
	s_delay_alu instid0(VALU_DEP_4) | instskip(SKIP_1) | instid1(VALU_DEP_3)
	v_mul_f64 v[6:7], v[6:7], 0.5
	s_waitcnt vmcnt(0)
	v_mul_f64 v[9:10], v[11:12], v[2:3]
	s_delay_alu instid0(VALU_DEP_2) | instskip(SKIP_1) | instid1(VALU_DEP_3)
	v_fma_f64 v[15:16], v[13:14], v[2:3], v[6:7]
	v_fma_f64 v[2:3], v[13:14], v[2:3], -v[6:7]
	v_fma_f64 v[6:7], v[4:5], 0.5, v[9:10]
	v_fma_f64 v[9:10], v[4:5], 0.5, -v[9:10]
	s_delay_alu instid0(VALU_DEP_4) | instskip(NEXT) | instid1(VALU_DEP_4)
	v_fma_f64 v[4:5], -v[0:1], v[11:12], v[15:16]
	v_fma_f64 v[11:12], -v[0:1], v[11:12], v[2:3]
	s_delay_alu instid0(VALU_DEP_4) | instskip(NEXT) | instid1(VALU_DEP_4)
	v_fma_f64 v[2:3], v[13:14], v[0:1], v[6:7]
	v_fma_f64 v[9:10], -v[13:14], v[0:1], v[9:10]
	ds_store_b128 v69, v[2:5]
	ds_store_b128 v8, v[9:12] offset:11264
.LBB0_37:
	s_or_b32 exec_lo, exec_lo, s1
	s_waitcnt lgkmcnt(0)
	s_barrier
	buffer_gl0_inv
	s_and_saveexec_b32 s0, vcc_lo
	s_cbranch_execz .LBB0_40
; %bb.38:
	v_mul_lo_u32 v2, s3, v54
	v_mul_lo_u32 v3, s2, v55
	v_mad_u64_u32 v[0:1], null, s2, v54, 0
	v_lshl_add_u32 v20, v56, 4, 0
	v_dual_mov_b32 v57, 0 :: v_dual_add_nc_u32 v12, 0xb0, v56
	v_lshlrev_b64 v[10:11], 4, v[52:53]
	v_add_nc_u32_e32 v14, 0x160, v56
	s_delay_alu instid0(VALU_DEP_3)
	v_dual_mov_b32 v13, v57 :: v_dual_add_nc_u32 v30, 0x420, v56
	v_add3_u32 v1, v1, v3, v2
	ds_load_b128 v[2:5], v20
	ds_load_b128 v[6:9], v20 offset:2816
	v_lshlrev_b64 v[16:17], 4, v[56:57]
	v_mov_b32_e32 v15, v57
	v_mov_b32_e32 v19, v57
	v_lshlrev_b64 v[0:1], 4, v[0:1]
	v_dual_mov_b32 v31, v57 :: v_dual_add_nc_u32 v18, 0x370, v56
	s_delay_alu instid0(VALU_DEP_2) | instskip(NEXT) | instid1(VALU_DEP_3)
	v_add_co_u32 v0, vcc_lo, s6, v0
	v_add_co_ci_u32_e32 v1, vcc_lo, s7, v1, vcc_lo
	s_delay_alu instid0(VALU_DEP_3) | instskip(NEXT) | instid1(VALU_DEP_3)
	v_lshlrev_b64 v[30:31], 4, v[30:31]
	v_add_co_u32 v0, vcc_lo, v0, v10
	s_delay_alu instid0(VALU_DEP_3) | instskip(SKIP_1) | instid1(VALU_DEP_3)
	v_add_co_ci_u32_e32 v1, vcc_lo, v1, v11, vcc_lo
	v_lshlrev_b64 v[10:11], 4, v[12:13]
	v_add_co_u32 v12, vcc_lo, v0, v16
	s_delay_alu instid0(VALU_DEP_3) | instskip(SKIP_1) | instid1(VALU_DEP_4)
	v_add_co_ci_u32_e32 v13, vcc_lo, v1, v17, vcc_lo
	v_lshlrev_b64 v[28:29], 4, v[18:19]
	v_add_co_u32 v10, vcc_lo, v0, v10
	v_add_co_ci_u32_e32 v11, vcc_lo, v1, v11, vcc_lo
	s_waitcnt lgkmcnt(1)
	global_store_b128 v[12:13], v[2:5], off
	s_waitcnt lgkmcnt(0)
	global_store_b128 v[10:11], v[6:9], off
	v_dual_mov_b32 v11, v57 :: v_dual_add_nc_u32 v10, 0x210, v56
	v_add_nc_u32_e32 v12, 0x2c0, v56
	v_lshlrev_b64 v[14:15], 4, v[14:15]
	v_mov_b32_e32 v13, v57
	ds_load_b128 v[2:5], v20 offset:5632
	ds_load_b128 v[6:9], v20 offset:8448
	v_lshlrev_b64 v[10:11], 4, v[10:11]
	v_add_co_u32 v22, vcc_lo, v0, v14
	v_add_co_ci_u32_e32 v23, vcc_lo, v1, v15, vcc_lo
	s_delay_alu instid0(VALU_DEP_3) | instskip(NEXT) | instid1(VALU_DEP_4)
	v_add_co_u32 v24, vcc_lo, v0, v10
	v_add_co_ci_u32_e32 v25, vcc_lo, v1, v11, vcc_lo
	v_lshlrev_b64 v[26:27], 4, v[12:13]
	ds_load_b128 v[10:13], v20 offset:11264
	ds_load_b128 v[14:17], v20 offset:14080
	ds_load_b128 v[18:21], v20 offset:16896
	v_add_co_u32 v26, vcc_lo, v0, v26
	v_add_co_ci_u32_e32 v27, vcc_lo, v1, v27, vcc_lo
	v_add_co_u32 v28, vcc_lo, v0, v28
	v_add_co_ci_u32_e32 v29, vcc_lo, v1, v29, vcc_lo
	;; [unrolled: 2-line block ×3, first 2 shown]
	v_cmp_eq_u32_e32 vcc_lo, 0xaf, v56
	s_waitcnt lgkmcnt(4)
	global_store_b128 v[22:23], v[2:5], off
	s_waitcnt lgkmcnt(3)
	global_store_b128 v[24:25], v[6:9], off
	s_waitcnt lgkmcnt(2)
	global_store_b128 v[26:27], v[10:13], off
	s_waitcnt lgkmcnt(1)
	global_store_b128 v[28:29], v[14:17], off
	s_waitcnt lgkmcnt(0)
	global_store_b128 v[30:31], v[18:21], off
	s_and_b32 exec_lo, exec_lo, vcc_lo
	s_cbranch_execz .LBB0_40
; %bb.39:
	ds_load_b128 v[2:5], v57 offset:19712
	v_add_co_u32 v0, vcc_lo, 0x4000, v0
	v_add_co_ci_u32_e32 v1, vcc_lo, 0, v1, vcc_lo
	s_waitcnt lgkmcnt(0)
	global_store_b128 v[0:1], v[2:5], off offset:3328
.LBB0_40:
	s_nop 0
	s_sendmsg sendmsg(MSG_DEALLOC_VGPRS)
	s_endpgm
	.section	.rodata,"a",@progbits
	.p2align	6, 0x0
	.amdhsa_kernel fft_rtc_back_len1232_factors_2_2_2_2_11_7_wgs_176_tpt_176_halfLds_dp_op_CI_CI_unitstride_sbrr_R2C_dirReg
		.amdhsa_group_segment_fixed_size 0
		.amdhsa_private_segment_fixed_size 0
		.amdhsa_kernarg_size 104
		.amdhsa_user_sgpr_count 15
		.amdhsa_user_sgpr_dispatch_ptr 0
		.amdhsa_user_sgpr_queue_ptr 0
		.amdhsa_user_sgpr_kernarg_segment_ptr 1
		.amdhsa_user_sgpr_dispatch_id 0
		.amdhsa_user_sgpr_private_segment_size 0
		.amdhsa_wavefront_size32 1
		.amdhsa_uses_dynamic_stack 0
		.amdhsa_enable_private_segment 0
		.amdhsa_system_sgpr_workgroup_id_x 1
		.amdhsa_system_sgpr_workgroup_id_y 0
		.amdhsa_system_sgpr_workgroup_id_z 0
		.amdhsa_system_sgpr_workgroup_info 0
		.amdhsa_system_vgpr_workitem_id 0
		.amdhsa_next_free_vgpr 210
		.amdhsa_next_free_sgpr 36
		.amdhsa_reserve_vcc 1
		.amdhsa_float_round_mode_32 0
		.amdhsa_float_round_mode_16_64 0
		.amdhsa_float_denorm_mode_32 3
		.amdhsa_float_denorm_mode_16_64 3
		.amdhsa_dx10_clamp 1
		.amdhsa_ieee_mode 1
		.amdhsa_fp16_overflow 0
		.amdhsa_workgroup_processor_mode 1
		.amdhsa_memory_ordered 1
		.amdhsa_forward_progress 0
		.amdhsa_shared_vgpr_count 0
		.amdhsa_exception_fp_ieee_invalid_op 0
		.amdhsa_exception_fp_denorm_src 0
		.amdhsa_exception_fp_ieee_div_zero 0
		.amdhsa_exception_fp_ieee_overflow 0
		.amdhsa_exception_fp_ieee_underflow 0
		.amdhsa_exception_fp_ieee_inexact 0
		.amdhsa_exception_int_div_zero 0
	.end_amdhsa_kernel
	.text
.Lfunc_end0:
	.size	fft_rtc_back_len1232_factors_2_2_2_2_11_7_wgs_176_tpt_176_halfLds_dp_op_CI_CI_unitstride_sbrr_R2C_dirReg, .Lfunc_end0-fft_rtc_back_len1232_factors_2_2_2_2_11_7_wgs_176_tpt_176_halfLds_dp_op_CI_CI_unitstride_sbrr_R2C_dirReg
                                        ; -- End function
	.section	.AMDGPU.csdata,"",@progbits
; Kernel info:
; codeLenInByte = 9996
; NumSgprs: 38
; NumVgprs: 210
; ScratchSize: 0
; MemoryBound: 0
; FloatMode: 240
; IeeeMode: 1
; LDSByteSize: 0 bytes/workgroup (compile time only)
; SGPRBlocks: 4
; VGPRBlocks: 26
; NumSGPRsForWavesPerEU: 38
; NumVGPRsForWavesPerEU: 210
; Occupancy: 7
; WaveLimiterHint : 1
; COMPUTE_PGM_RSRC2:SCRATCH_EN: 0
; COMPUTE_PGM_RSRC2:USER_SGPR: 15
; COMPUTE_PGM_RSRC2:TRAP_HANDLER: 0
; COMPUTE_PGM_RSRC2:TGID_X_EN: 1
; COMPUTE_PGM_RSRC2:TGID_Y_EN: 0
; COMPUTE_PGM_RSRC2:TGID_Z_EN: 0
; COMPUTE_PGM_RSRC2:TIDIG_COMP_CNT: 0
	.text
	.p2alignl 7, 3214868480
	.fill 96, 4, 3214868480
	.type	__hip_cuid_2bd820fb78a94f36,@object ; @__hip_cuid_2bd820fb78a94f36
	.section	.bss,"aw",@nobits
	.globl	__hip_cuid_2bd820fb78a94f36
__hip_cuid_2bd820fb78a94f36:
	.byte	0                               ; 0x0
	.size	__hip_cuid_2bd820fb78a94f36, 1

	.ident	"AMD clang version 19.0.0git (https://github.com/RadeonOpenCompute/llvm-project roc-6.4.0 25133 c7fe45cf4b819c5991fe208aaa96edf142730f1d)"
	.section	".note.GNU-stack","",@progbits
	.addrsig
	.addrsig_sym __hip_cuid_2bd820fb78a94f36
	.amdgpu_metadata
---
amdhsa.kernels:
  - .args:
      - .actual_access:  read_only
        .address_space:  global
        .offset:         0
        .size:           8
        .value_kind:     global_buffer
      - .offset:         8
        .size:           8
        .value_kind:     by_value
      - .actual_access:  read_only
        .address_space:  global
        .offset:         16
        .size:           8
        .value_kind:     global_buffer
      - .actual_access:  read_only
        .address_space:  global
        .offset:         24
        .size:           8
        .value_kind:     global_buffer
      - .actual_access:  read_only
        .address_space:  global
        .offset:         32
        .size:           8
        .value_kind:     global_buffer
      - .offset:         40
        .size:           8
        .value_kind:     by_value
      - .actual_access:  read_only
        .address_space:  global
        .offset:         48
        .size:           8
        .value_kind:     global_buffer
      - .actual_access:  read_only
        .address_space:  global
        .offset:         56
        .size:           8
        .value_kind:     global_buffer
      - .offset:         64
        .size:           4
        .value_kind:     by_value
      - .actual_access:  read_only
        .address_space:  global
        .offset:         72
        .size:           8
        .value_kind:     global_buffer
      - .actual_access:  read_only
        .address_space:  global
        .offset:         80
        .size:           8
        .value_kind:     global_buffer
      - .actual_access:  read_only
        .address_space:  global
        .offset:         88
        .size:           8
        .value_kind:     global_buffer
      - .actual_access:  write_only
        .address_space:  global
        .offset:         96
        .size:           8
        .value_kind:     global_buffer
    .group_segment_fixed_size: 0
    .kernarg_segment_align: 8
    .kernarg_segment_size: 104
    .language:       OpenCL C
    .language_version:
      - 2
      - 0
    .max_flat_workgroup_size: 176
    .name:           fft_rtc_back_len1232_factors_2_2_2_2_11_7_wgs_176_tpt_176_halfLds_dp_op_CI_CI_unitstride_sbrr_R2C_dirReg
    .private_segment_fixed_size: 0
    .sgpr_count:     38
    .sgpr_spill_count: 0
    .symbol:         fft_rtc_back_len1232_factors_2_2_2_2_11_7_wgs_176_tpt_176_halfLds_dp_op_CI_CI_unitstride_sbrr_R2C_dirReg.kd
    .uniform_work_group_size: 1
    .uses_dynamic_stack: false
    .vgpr_count:     210
    .vgpr_spill_count: 0
    .wavefront_size: 32
    .workgroup_processor_mode: 1
amdhsa.target:   amdgcn-amd-amdhsa--gfx1100
amdhsa.version:
  - 1
  - 2
...

	.end_amdgpu_metadata
